;; amdgpu-corpus repo=ROCm/rocFFT kind=compiled arch=gfx1030 opt=O3
	.text
	.amdgcn_target "amdgcn-amd-amdhsa--gfx1030"
	.amdhsa_code_object_version 6
	.protected	fft_rtc_back_len3888_factors_16_3_3_3_3_3_wgs_324_tpt_324_halfLds_dp_ip_CI_unitstride_sbrr_C2R_dirReg ; -- Begin function fft_rtc_back_len3888_factors_16_3_3_3_3_3_wgs_324_tpt_324_halfLds_dp_ip_CI_unitstride_sbrr_C2R_dirReg
	.globl	fft_rtc_back_len3888_factors_16_3_3_3_3_3_wgs_324_tpt_324_halfLds_dp_ip_CI_unitstride_sbrr_C2R_dirReg
	.p2align	8
	.type	fft_rtc_back_len3888_factors_16_3_3_3_3_3_wgs_324_tpt_324_halfLds_dp_ip_CI_unitstride_sbrr_C2R_dirReg,@function
fft_rtc_back_len3888_factors_16_3_3_3_3_3_wgs_324_tpt_324_halfLds_dp_ip_CI_unitstride_sbrr_C2R_dirReg: ; @fft_rtc_back_len3888_factors_16_3_3_3_3_3_wgs_324_tpt_324_halfLds_dp_ip_CI_unitstride_sbrr_C2R_dirReg
; %bb.0:
	s_clause 0x2
	s_load_dwordx4 s[8:11], s[4:5], 0x0
	s_load_dwordx2 s[2:3], s[4:5], 0x50
	s_load_dwordx2 s[12:13], s[4:5], 0x18
	v_mul_u32_u24_e32 v1, 0x195, v0
	v_mov_b32_e32 v3, 0
	v_lshrrev_b32_e32 v1, 17, v1
	v_mov_b32_e32 v6, v3
	v_add_nc_u32_e32 v5, s6, v1
	v_mov_b32_e32 v1, 0
	v_mov_b32_e32 v2, 0
	s_waitcnt lgkmcnt(0)
	v_cmp_lt_u64_e64 s0, s[10:11], 2
	s_and_b32 vcc_lo, exec_lo, s0
	s_cbranch_vccnz .LBB0_8
; %bb.1:
	s_load_dwordx2 s[0:1], s[4:5], 0x10
	v_mov_b32_e32 v1, 0
	s_add_u32 s6, s12, 8
	v_mov_b32_e32 v2, 0
	s_addc_u32 s7, s13, 0
	s_mov_b64 s[16:17], 1
	s_waitcnt lgkmcnt(0)
	s_add_u32 s14, s0, 8
	s_addc_u32 s15, s1, 0
.LBB0_2:                                ; =>This Inner Loop Header: Depth=1
	s_load_dwordx2 s[18:19], s[14:15], 0x0
                                        ; implicit-def: $vgpr7_vgpr8
	s_mov_b32 s0, exec_lo
	s_waitcnt lgkmcnt(0)
	v_or_b32_e32 v4, s19, v6
	v_cmpx_ne_u64_e32 0, v[3:4]
	s_xor_b32 s1, exec_lo, s0
	s_cbranch_execz .LBB0_4
; %bb.3:                                ;   in Loop: Header=BB0_2 Depth=1
	v_cvt_f32_u32_e32 v4, s18
	v_cvt_f32_u32_e32 v7, s19
	s_sub_u32 s0, 0, s18
	s_subb_u32 s20, 0, s19
	v_fmac_f32_e32 v4, 0x4f800000, v7
	v_rcp_f32_e32 v4, v4
	v_mul_f32_e32 v4, 0x5f7ffffc, v4
	v_mul_f32_e32 v7, 0x2f800000, v4
	v_trunc_f32_e32 v7, v7
	v_fmac_f32_e32 v4, 0xcf800000, v7
	v_cvt_u32_f32_e32 v7, v7
	v_cvt_u32_f32_e32 v4, v4
	v_mul_lo_u32 v8, s0, v7
	v_mul_hi_u32 v9, s0, v4
	v_mul_lo_u32 v10, s20, v4
	v_add_nc_u32_e32 v8, v9, v8
	v_mul_lo_u32 v9, s0, v4
	v_add_nc_u32_e32 v8, v8, v10
	v_mul_hi_u32 v10, v4, v9
	v_mul_lo_u32 v11, v4, v8
	v_mul_hi_u32 v12, v4, v8
	v_mul_hi_u32 v13, v7, v9
	v_mul_lo_u32 v9, v7, v9
	v_mul_hi_u32 v14, v7, v8
	v_mul_lo_u32 v8, v7, v8
	v_add_co_u32 v10, vcc_lo, v10, v11
	v_add_co_ci_u32_e32 v11, vcc_lo, 0, v12, vcc_lo
	v_add_co_u32 v9, vcc_lo, v10, v9
	v_add_co_ci_u32_e32 v9, vcc_lo, v11, v13, vcc_lo
	v_add_co_ci_u32_e32 v10, vcc_lo, 0, v14, vcc_lo
	v_add_co_u32 v8, vcc_lo, v9, v8
	v_add_co_ci_u32_e32 v9, vcc_lo, 0, v10, vcc_lo
	v_add_co_u32 v4, vcc_lo, v4, v8
	v_add_co_ci_u32_e32 v7, vcc_lo, v7, v9, vcc_lo
	v_mul_hi_u32 v8, s0, v4
	v_mul_lo_u32 v10, s20, v4
	v_mul_lo_u32 v9, s0, v7
	v_add_nc_u32_e32 v8, v8, v9
	v_mul_lo_u32 v9, s0, v4
	v_add_nc_u32_e32 v8, v8, v10
	v_mul_hi_u32 v10, v4, v9
	v_mul_lo_u32 v11, v4, v8
	v_mul_hi_u32 v12, v4, v8
	v_mul_hi_u32 v13, v7, v9
	v_mul_lo_u32 v9, v7, v9
	v_mul_hi_u32 v14, v7, v8
	v_mul_lo_u32 v8, v7, v8
	v_add_co_u32 v10, vcc_lo, v10, v11
	v_add_co_ci_u32_e32 v11, vcc_lo, 0, v12, vcc_lo
	v_add_co_u32 v9, vcc_lo, v10, v9
	v_add_co_ci_u32_e32 v9, vcc_lo, v11, v13, vcc_lo
	v_add_co_ci_u32_e32 v10, vcc_lo, 0, v14, vcc_lo
	v_add_co_u32 v8, vcc_lo, v9, v8
	v_add_co_ci_u32_e32 v9, vcc_lo, 0, v10, vcc_lo
	v_add_co_u32 v4, vcc_lo, v4, v8
	v_add_co_ci_u32_e32 v11, vcc_lo, v7, v9, vcc_lo
	v_mul_hi_u32 v13, v5, v4
	v_mad_u64_u32 v[9:10], null, v6, v4, 0
	v_mad_u64_u32 v[7:8], null, v5, v11, 0
	;; [unrolled: 1-line block ×3, first 2 shown]
	v_add_co_u32 v4, vcc_lo, v13, v7
	v_add_co_ci_u32_e32 v7, vcc_lo, 0, v8, vcc_lo
	v_add_co_u32 v4, vcc_lo, v4, v9
	v_add_co_ci_u32_e32 v4, vcc_lo, v7, v10, vcc_lo
	v_add_co_ci_u32_e32 v7, vcc_lo, 0, v12, vcc_lo
	v_add_co_u32 v4, vcc_lo, v4, v11
	v_add_co_ci_u32_e32 v9, vcc_lo, 0, v7, vcc_lo
	v_mul_lo_u32 v10, s19, v4
	v_mad_u64_u32 v[7:8], null, s18, v4, 0
	v_mul_lo_u32 v11, s18, v9
	v_sub_co_u32 v7, vcc_lo, v5, v7
	v_add3_u32 v8, v8, v11, v10
	v_sub_nc_u32_e32 v10, v6, v8
	v_subrev_co_ci_u32_e64 v10, s0, s19, v10, vcc_lo
	v_add_co_u32 v11, s0, v4, 2
	v_add_co_ci_u32_e64 v12, s0, 0, v9, s0
	v_sub_co_u32 v13, s0, v7, s18
	v_sub_co_ci_u32_e32 v8, vcc_lo, v6, v8, vcc_lo
	v_subrev_co_ci_u32_e64 v10, s0, 0, v10, s0
	v_cmp_le_u32_e32 vcc_lo, s18, v13
	v_cmp_eq_u32_e64 s0, s19, v8
	v_cndmask_b32_e64 v13, 0, -1, vcc_lo
	v_cmp_le_u32_e32 vcc_lo, s19, v10
	v_cndmask_b32_e64 v14, 0, -1, vcc_lo
	v_cmp_le_u32_e32 vcc_lo, s18, v7
	;; [unrolled: 2-line block ×3, first 2 shown]
	v_cndmask_b32_e64 v15, 0, -1, vcc_lo
	v_cmp_eq_u32_e32 vcc_lo, s19, v10
	v_cndmask_b32_e64 v7, v15, v7, s0
	v_cndmask_b32_e32 v10, v14, v13, vcc_lo
	v_add_co_u32 v13, vcc_lo, v4, 1
	v_add_co_ci_u32_e32 v14, vcc_lo, 0, v9, vcc_lo
	v_cmp_ne_u32_e32 vcc_lo, 0, v10
	v_cndmask_b32_e32 v8, v14, v12, vcc_lo
	v_cndmask_b32_e32 v10, v13, v11, vcc_lo
	v_cmp_ne_u32_e32 vcc_lo, 0, v7
	v_cndmask_b32_e32 v8, v9, v8, vcc_lo
	v_cndmask_b32_e32 v7, v4, v10, vcc_lo
.LBB0_4:                                ;   in Loop: Header=BB0_2 Depth=1
	s_andn2_saveexec_b32 s0, s1
	s_cbranch_execz .LBB0_6
; %bb.5:                                ;   in Loop: Header=BB0_2 Depth=1
	v_cvt_f32_u32_e32 v4, s18
	s_sub_i32 s1, 0, s18
	v_rcp_iflag_f32_e32 v4, v4
	v_mul_f32_e32 v4, 0x4f7ffffe, v4
	v_cvt_u32_f32_e32 v4, v4
	v_mul_lo_u32 v7, s1, v4
	v_mul_hi_u32 v7, v4, v7
	v_add_nc_u32_e32 v4, v4, v7
	v_mul_hi_u32 v4, v5, v4
	v_mul_lo_u32 v7, v4, s18
	v_add_nc_u32_e32 v8, 1, v4
	v_sub_nc_u32_e32 v7, v5, v7
	v_subrev_nc_u32_e32 v9, s18, v7
	v_cmp_le_u32_e32 vcc_lo, s18, v7
	v_cndmask_b32_e32 v7, v7, v9, vcc_lo
	v_cndmask_b32_e32 v4, v4, v8, vcc_lo
	v_cmp_le_u32_e32 vcc_lo, s18, v7
	v_add_nc_u32_e32 v8, 1, v4
	v_cndmask_b32_e32 v7, v4, v8, vcc_lo
	v_mov_b32_e32 v8, v3
.LBB0_6:                                ;   in Loop: Header=BB0_2 Depth=1
	s_or_b32 exec_lo, exec_lo, s0
	s_load_dwordx2 s[0:1], s[6:7], 0x0
	v_mul_lo_u32 v4, v8, s18
	v_mul_lo_u32 v11, v7, s19
	v_mad_u64_u32 v[9:10], null, v7, s18, 0
	s_add_u32 s16, s16, 1
	s_addc_u32 s17, s17, 0
	s_add_u32 s6, s6, 8
	s_addc_u32 s7, s7, 0
	;; [unrolled: 2-line block ×3, first 2 shown]
	v_add3_u32 v4, v10, v11, v4
	v_sub_co_u32 v5, vcc_lo, v5, v9
	v_sub_co_ci_u32_e32 v4, vcc_lo, v6, v4, vcc_lo
	s_waitcnt lgkmcnt(0)
	v_mul_lo_u32 v6, s1, v5
	v_mul_lo_u32 v4, s0, v4
	v_mad_u64_u32 v[1:2], null, s0, v5, v[1:2]
	v_cmp_ge_u64_e64 s0, s[16:17], s[10:11]
	s_and_b32 vcc_lo, exec_lo, s0
	v_add3_u32 v2, v6, v2, v4
	s_cbranch_vccnz .LBB0_9
; %bb.7:                                ;   in Loop: Header=BB0_2 Depth=1
	v_mov_b32_e32 v5, v7
	v_mov_b32_e32 v6, v8
	s_branch .LBB0_2
.LBB0_8:
	v_mov_b32_e32 v8, v6
	v_mov_b32_e32 v7, v5
.LBB0_9:
	s_lshl_b64 s[0:1], s[10:11], 3
	v_mul_hi_u32_u24_e32 v5, 0xca4588, v0
	s_add_u32 s0, s12, s0
	s_addc_u32 s1, s13, s1
	s_load_dwordx2 s[0:1], s[0:1], 0x0
	s_load_dwordx2 s[4:5], s[4:5], 0x20
	s_waitcnt lgkmcnt(0)
	v_mul_lo_u32 v3, s0, v8
	v_mul_lo_u32 v4, s1, v7
	v_mad_u64_u32 v[1:2], null, s0, v7, v[1:2]
	v_cmp_gt_u64_e32 vcc_lo, s[4:5], v[7:8]
	v_add3_u32 v2, v4, v2, v3
	v_mul_u32_u24_e32 v3, 0x144, v5
	v_lshlrev_b64 v[66:67], 4, v[1:2]
	v_sub_nc_u32_e32 v64, v0, v3
	s_and_saveexec_b32 s1, vcc_lo
	s_cbranch_execz .LBB0_13
; %bb.10:
	v_mov_b32_e32 v65, 0
	v_add_co_u32 v0, s0, s2, v66
	v_add_co_ci_u32_e64 v1, s0, s3, v67, s0
	v_lshlrev_b64 v[2:3], 4, v[64:65]
	v_lshl_add_u32 v50, v64, 4, 0
	s_mov_b32 s4, exec_lo
	v_add_co_u32 v26, s0, v0, v2
	v_add_co_ci_u32_e64 v27, s0, v1, v3, s0
	v_add_co_u32 v6, s0, 0x1000, v26
	v_add_co_ci_u32_e64 v7, s0, 0, v27, s0
	;; [unrolled: 2-line block ×12, first 2 shown]
	s_clause 0xb
	global_load_dwordx4 v[2:5], v[26:27], off
	global_load_dwordx4 v[6:9], v[6:7], off offset:1088
	global_load_dwordx4 v[10:13], v[10:11], off offset:128
	;; [unrolled: 1-line block ×11, first 2 shown]
	s_waitcnt vmcnt(11)
	ds_write_b128 v50, v[2:5]
	s_waitcnt vmcnt(10)
	ds_write_b128 v50, v[6:9] offset:5184
	s_waitcnt vmcnt(9)
	ds_write_b128 v50, v[10:13] offset:10368
	;; [unrolled: 2-line block ×11, first 2 shown]
	v_cmpx_eq_u32_e32 0x143, v64
	s_cbranch_execz .LBB0_12
; %bb.11:
	v_add_co_u32 v0, s0, 0xf000, v0
	v_add_co_ci_u32_e64 v1, s0, 0, v1, s0
	v_mov_b32_e32 v64, 0x143
	global_load_dwordx4 v[0:3], v[0:1], off offset:768
	s_waitcnt vmcnt(0)
	ds_write_b128 v65, v[0:3] offset:62208
.LBB0_12:
	s_or_b32 exec_lo, exec_lo, s4
.LBB0_13:
	s_or_b32 exec_lo, exec_lo, s1
	v_lshlrev_b32_e32 v0, 4, v64
	s_waitcnt lgkmcnt(0)
	s_barrier
	buffer_gl0_inv
	s_add_u32 s1, s8, 0xf200
	v_add_nc_u32_e32 v74, 0, v0
	v_sub_nc_u32_e32 v8, 0, v0
	s_addc_u32 s4, s9, 0
	s_mov_b32 s5, exec_lo
	ds_read_b64 v[4:5], v74
	ds_read_b64 v[6:7], v8 offset:62208
	s_waitcnt lgkmcnt(0)
	v_add_f64 v[0:1], v[4:5], v[6:7]
	v_add_f64 v[2:3], v[4:5], -v[6:7]
	v_cmpx_ne_u32_e32 0, v64
	s_xor_b32 s5, exec_lo, s5
	s_cbranch_execz .LBB0_15
; %bb.14:
	v_mov_b32_e32 v65, 0
	v_add_f64 v[13:14], v[4:5], v[6:7]
	v_add_f64 v[15:16], v[4:5], -v[6:7]
	v_lshlrev_b64 v[0:1], 4, v[64:65]
	v_add_co_u32 v0, s0, s1, v0
	v_add_co_ci_u32_e64 v1, s0, s4, v1, s0
	global_load_dwordx4 v[9:12], v[0:1], off
	ds_read_b64 v[0:1], v8 offset:62216
	ds_read_b64 v[2:3], v74 offset:8
	s_waitcnt lgkmcnt(0)
	v_add_f64 v[4:5], v[0:1], v[2:3]
	v_add_f64 v[0:1], v[2:3], -v[0:1]
	s_waitcnt vmcnt(0)
	v_fma_f64 v[2:3], v[15:16], v[11:12], v[13:14]
	v_fma_f64 v[6:7], -v[15:16], v[11:12], v[13:14]
	v_fma_f64 v[13:14], v[4:5], v[11:12], -v[0:1]
	v_fma_f64 v[11:12], v[4:5], v[11:12], v[0:1]
	v_fma_f64 v[0:1], -v[4:5], v[9:10], v[2:3]
	v_fma_f64 v[4:5], v[4:5], v[9:10], v[6:7]
	v_fma_f64 v[6:7], v[15:16], v[9:10], v[13:14]
	;; [unrolled: 1-line block ×3, first 2 shown]
	ds_write_b128 v8, v[4:7] offset:62208
.LBB0_15:
	s_andn2_saveexec_b32 s0, s5
	s_cbranch_execz .LBB0_17
; %bb.16:
	v_mov_b32_e32 v9, 0
	ds_read_b128 v[4:7], v9 offset:31104
	s_waitcnt lgkmcnt(0)
	v_add_f64 v[4:5], v[4:5], v[4:5]
	v_mul_f64 v[6:7], v[6:7], -2.0
	ds_write_b128 v9, v[4:7] offset:31104
.LBB0_17:
	s_or_b32 exec_lo, exec_lo, s0
	v_add_nc_u32_e32 v68, 0x144, v64
	v_mov_b32_e32 v69, 0
	v_add_nc_u32_e32 v72, 0x288, v64
	v_add_nc_u32_e32 v70, 0x3cc, v64
	;; [unrolled: 1-line block ×3, first 2 shown]
	ds_write_b128 v74, v[0:3]
	v_lshlrev_b64 v[4:5], 4, v[68:69]
	v_mov_b32_e32 v73, v69
	v_mov_b32_e32 v71, v69
	;; [unrolled: 1-line block ×3, first 2 shown]
	s_mov_b32 s14, exec_lo
	v_add_co_u32 v4, s0, s1, v4
	v_add_co_ci_u32_e64 v5, s0, s4, v5, s0
	v_lshlrev_b64 v[9:10], 4, v[72:73]
	v_lshlrev_b64 v[13:14], 4, v[70:71]
	;; [unrolled: 1-line block ×3, first 2 shown]
	global_load_dwordx4 v[4:7], v[4:5], off
	v_add_co_u32 v9, s0, s1, v9
	v_add_co_ci_u32_e64 v10, s0, s4, v10, s0
	v_add_co_u32 v13, s0, s1, v13
	v_add_co_ci_u32_e64 v14, s0, s4, v14, s0
	global_load_dwordx4 v[9:12], v[9:10], off
	v_add_co_u32 v21, s0, s1, v17
	global_load_dwordx4 v[13:16], v[13:14], off
	v_add_co_ci_u32_e64 v22, s0, s4, v18, s0
	ds_read_b128 v[0:3], v74 offset:5184
	ds_read_b128 v[17:20], v8 offset:57024
	global_load_dwordx4 v[21:24], v[21:22], off
	s_waitcnt lgkmcnt(0)
	v_add_f64 v[25:26], v[0:1], v[17:18]
	v_add_f64 v[27:28], v[19:20], v[2:3]
	v_add_f64 v[29:30], v[0:1], -v[17:18]
	v_add_f64 v[0:1], v[2:3], -v[19:20]
	s_waitcnt vmcnt(3)
	v_fma_f64 v[2:3], v[29:30], v[6:7], v[25:26]
	v_fma_f64 v[17:18], v[27:28], v[6:7], v[0:1]
	v_fma_f64 v[19:20], -v[29:30], v[6:7], v[25:26]
	v_fma_f64 v[6:7], v[27:28], v[6:7], -v[0:1]
	v_fma_f64 v[0:1], -v[27:28], v[4:5], v[2:3]
	v_fma_f64 v[2:3], v[29:30], v[4:5], v[17:18]
	v_fma_f64 v[17:18], v[27:28], v[4:5], v[19:20]
	;; [unrolled: 1-line block ×3, first 2 shown]
	v_add_nc_u32_e32 v4, 0x654, v64
	v_mov_b32_e32 v5, v69
	ds_write_b128 v74, v[0:3] offset:5184
	ds_write_b128 v8, v[17:20] offset:57024
	v_lshlrev_b64 v[4:5], 4, v[4:5]
	v_add_co_u32 v25, s0, s1, v4
	v_add_co_ci_u32_e64 v26, s0, s4, v5, s0
	ds_read_b128 v[0:3], v74 offset:10368
	ds_read_b128 v[4:7], v8 offset:51840
	global_load_dwordx4 v[17:20], v[25:26], off
	s_waitcnt lgkmcnt(0)
	v_add_f64 v[25:26], v[0:1], v[4:5]
	v_add_f64 v[27:28], v[6:7], v[2:3]
	v_add_f64 v[29:30], v[0:1], -v[4:5]
	v_add_f64 v[0:1], v[2:3], -v[6:7]
	s_waitcnt vmcnt(3)
	v_fma_f64 v[2:3], v[29:30], v[11:12], v[25:26]
	v_fma_f64 v[4:5], v[27:28], v[11:12], v[0:1]
	v_fma_f64 v[6:7], -v[29:30], v[11:12], v[25:26]
	v_fma_f64 v[11:12], v[27:28], v[11:12], -v[0:1]
	v_fma_f64 v[0:1], -v[27:28], v[9:10], v[2:3]
	v_fma_f64 v[2:3], v[29:30], v[9:10], v[4:5]
	v_fma_f64 v[4:5], v[27:28], v[9:10], v[6:7]
	v_fma_f64 v[6:7], v[29:30], v[9:10], v[11:12]
	ds_write_b128 v74, v[0:3] offset:10368
	ds_write_b128 v8, v[4:7] offset:51840
	ds_read_b128 v[0:3], v74 offset:15552
	ds_read_b128 v[4:7], v8 offset:46656
	s_waitcnt lgkmcnt(0)
	v_add_f64 v[9:10], v[0:1], v[4:5]
	v_add_f64 v[11:12], v[6:7], v[2:3]
	v_add_f64 v[25:26], v[0:1], -v[4:5]
	v_add_f64 v[0:1], v[2:3], -v[6:7]
	s_waitcnt vmcnt(2)
	v_fma_f64 v[2:3], v[25:26], v[15:16], v[9:10]
	v_fma_f64 v[4:5], v[11:12], v[15:16], v[0:1]
	v_fma_f64 v[6:7], -v[25:26], v[15:16], v[9:10]
	v_fma_f64 v[9:10], v[11:12], v[15:16], -v[0:1]
	v_fma_f64 v[0:1], -v[11:12], v[13:14], v[2:3]
	v_fma_f64 v[2:3], v[25:26], v[13:14], v[4:5]
	v_fma_f64 v[4:5], v[11:12], v[13:14], v[6:7]
	v_fma_f64 v[6:7], v[25:26], v[13:14], v[9:10]
	ds_write_b128 v74, v[0:3] offset:15552
	ds_write_b128 v8, v[4:7] offset:46656
	ds_read_b128 v[0:3], v74 offset:20736
	ds_read_b128 v[4:7], v8 offset:41472
	;; [unrolled: 18-line block ×3, first 2 shown]
	s_waitcnt lgkmcnt(0)
	v_add_f64 v[9:10], v[0:1], v[4:5]
	v_add_f64 v[11:12], v[6:7], v[2:3]
	v_add_f64 v[13:14], v[0:1], -v[4:5]
	v_add_f64 v[0:1], v[2:3], -v[6:7]
	s_waitcnt vmcnt(0)
	v_fma_f64 v[2:3], v[13:14], v[19:20], v[9:10]
	v_fma_f64 v[4:5], v[11:12], v[19:20], v[0:1]
	v_fma_f64 v[6:7], -v[13:14], v[19:20], v[9:10]
	v_fma_f64 v[9:10], v[11:12], v[19:20], -v[0:1]
	v_fma_f64 v[0:1], -v[11:12], v[17:18], v[2:3]
	v_fma_f64 v[2:3], v[13:14], v[17:18], v[4:5]
	v_fma_f64 v[4:5], v[11:12], v[17:18], v[6:7]
	v_fma_f64 v[6:7], v[13:14], v[17:18], v[9:10]
	ds_write_b128 v74, v[0:3] offset:25920
	ds_write_b128 v8, v[4:7] offset:36288
	s_waitcnt lgkmcnt(0)
	s_barrier
	buffer_gl0_inv
	s_barrier
	buffer_gl0_inv
	ds_read_b128 v[4:7], v74 offset:3888
	ds_read_b128 v[0:3], v74 offset:7776
	ds_read_b128 v[12:15], v74 offset:11664
	ds_read_b128 v[16:19], v74 offset:15552
	ds_read_b128 v[24:27], v74 offset:19440
	ds_read_b128 v[8:11], v74 offset:23328
	ds_read_b128 v[28:31], v74 offset:27216
	ds_read_b128 v[32:35], v74 offset:31104
	ds_read_b128 v[40:43], v74 offset:34992
	ds_read_b128 v[56:59], v74 offset:38880
	ds_read_b128 v[48:51], v74 offset:42768
	ds_read_b128 v[36:39], v74 offset:46656
	ds_read_b128 v[44:47], v74 offset:50544
	ds_read_b128 v[60:63], v74 offset:54432
	ds_read_b128 v[20:23], v74
	ds_read_b128 v[52:55], v74 offset:58320
	s_waitcnt lgkmcnt(0)
	s_barrier
	buffer_gl0_inv
	v_cmpx_gt_u32_e32 0xf3, v64
	s_cbranch_execz .LBB0_19
; %bb.18:
	v_add_f64 v[34:35], v[22:23], -v[34:35]
	v_add_f64 v[36:37], v[16:17], -v[36:37]
	;; [unrolled: 1-line block ×16, first 2 shown]
	s_mov_b32 s0, 0x667f3bcd
	s_mov_b32 s1, 0x3fe6a09e
	;; [unrolled: 1-line block ×6, first 2 shown]
	v_fma_f64 v[22:23], v[22:23], 2.0, -v[34:35]
	v_add_f64 v[75:76], v[34:35], -v[36:37]
	v_fma_f64 v[16:17], v[16:17], 2.0, -v[36:37]
	v_add_f64 v[77:78], v[58:59], -v[60:61]
	v_fma_f64 v[0:1], v[0:1], 2.0, -v[56:57]
	v_add_f64 v[79:80], v[56:57], v[62:63]
	v_fma_f64 v[8:9], v[8:9], 2.0, -v[60:61]
	v_fma_f64 v[6:7], v[6:7], 2.0, -v[42:43]
	;; [unrolled: 1-line block ×4, first 2 shown]
	v_add_f64 v[81:82], v[42:43], -v[44:45]
	v_add_f64 v[52:53], v[50:51], -v[52:53]
	v_add_f64 v[54:55], v[48:49], v[54:55]
	v_add_f64 v[83:84], v[40:41], v[46:47]
	v_fma_f64 v[24:25], v[24:25], 2.0, -v[44:45]
	v_add_f64 v[44:45], v[32:33], v[38:39]
	v_fma_f64 v[26:27], v[26:27], 2.0, -v[46:47]
	v_fma_f64 v[18:19], v[18:19], 2.0, -v[38:39]
	;; [unrolled: 1-line block ×10, first 2 shown]
	v_fma_f64 v[36:37], v[77:78], s[0:1], v[75:76]
	s_mov_b32 s10, 0xa6aea964
	v_add_f64 v[8:9], v[0:1], -v[8:9]
	s_mov_b32 s11, 0xbfd87de2
	s_mov_b32 s13, 0x3fd87de2
	;; [unrolled: 1-line block ×3, first 2 shown]
	v_fma_f64 v[42:43], v[42:43], 2.0, -v[81:82]
	v_fma_f64 v[46:47], v[50:51], 2.0, -v[52:53]
	v_fma_f64 v[48:49], v[48:49], 2.0, -v[54:55]
	v_fma_f64 v[40:41], v[40:41], 2.0, -v[83:84]
	v_fma_f64 v[50:51], v[56:57], 2.0, -v[79:80]
	v_fma_f64 v[32:33], v[32:33], 2.0, -v[44:45]
	v_fma_f64 v[56:57], v[52:53], s[0:1], v[81:82]
	v_fma_f64 v[58:59], v[54:55], s[0:1], v[83:84]
	;; [unrolled: 1-line block ×3, first 2 shown]
	v_add_f64 v[18:19], v[22:23], -v[18:19]
	v_add_f64 v[26:27], v[6:7], -v[26:27]
	;; [unrolled: 1-line block ×7, first 2 shown]
	v_fma_f64 v[62:63], v[38:39], s[4:5], v[34:35]
	v_fma_f64 v[36:37], v[79:80], s[4:5], v[36:37]
	v_fma_f64 v[0:1], v[0:1], 2.0, -v[8:9]
	s_mov_b32 s17, 0xbfed906b
	s_mov_b32 s16, s6
	v_mad_u32_u24 v65, 0xf0, v64, v74
	v_fma_f64 v[85:86], v[46:47], s[4:5], v[42:43]
	v_fma_f64 v[87:88], v[48:49], s[4:5], v[40:41]
	;; [unrolled: 1-line block ×6, first 2 shown]
	v_add_f64 v[58:59], v[18:19], -v[8:9]
	v_fma_f64 v[6:7], v[6:7], 2.0, -v[26:27]
	v_add_f64 v[60:61], v[26:27], -v[28:29]
	v_fma_f64 v[12:13], v[12:13], 2.0, -v[28:29]
	v_fma_f64 v[8:9], v[14:15], 2.0, -v[30:31]
	;; [unrolled: 1-line block ×6, first 2 shown]
	v_add_f64 v[77:78], v[24:25], v[30:31]
	v_add_f64 v[79:80], v[16:17], v[10:11]
	v_fma_f64 v[50:51], v[50:51], s[4:5], v[62:63]
	v_fma_f64 v[28:29], v[48:49], s[4:5], v[85:86]
	v_fma_f64 v[48:49], v[75:76], 2.0, -v[36:37]
	v_fma_f64 v[22:23], v[46:47], s[0:1], v[87:88]
	v_fma_f64 v[62:63], v[38:39], s[0:1], v[89:90]
	v_fma_f64 v[30:31], v[81:82], 2.0, -v[54:55]
	v_fma_f64 v[38:39], v[83:84], 2.0, -v[52:53]
	;; [unrolled: 1-line block ×5, first 2 shown]
	v_fma_f64 v[10:11], v[60:61], s[0:1], v[58:59]
	v_add_f64 v[8:9], v[6:7], -v[8:9]
	v_add_f64 v[81:82], v[14:15], -v[2:3]
	;; [unrolled: 1-line block ×4, first 2 shown]
	v_fma_f64 v[24:25], v[24:25], 2.0, -v[77:78]
	v_fma_f64 v[85:86], v[16:17], 2.0, -v[79:80]
	v_fma_f64 v[87:88], v[34:35], 2.0, -v[50:51]
	v_fma_f64 v[2:3], v[54:55], s[6:7], v[36:37]
	v_fma_f64 v[16:17], v[77:78], s[0:1], v[79:80]
	v_fma_f64 v[34:35], v[42:43], 2.0, -v[28:29]
	v_fma_f64 v[12:13], v[52:53], s[6:7], v[56:57]
	v_fma_f64 v[40:41], v[40:41], 2.0, -v[22:23]
	v_fma_f64 v[89:90], v[32:33], 2.0, -v[62:63]
	v_fma_f64 v[32:33], v[28:29], s[12:13], v[50:51]
	v_fma_f64 v[18:19], v[30:31], s[10:11], v[48:49]
	;; [unrolled: 1-line block ×5, first 2 shown]
	v_fma_f64 v[42:43], v[6:7], 2.0, -v[8:9]
	v_fma_f64 v[6:7], v[77:78], s[4:5], v[10:11]
	v_fma_f64 v[91:92], v[14:15], 2.0, -v[81:82]
	v_fma_f64 v[93:94], v[20:21], 2.0, -v[83:84]
	;; [unrolled: 1-line block ×3, first 2 shown]
	v_add_f64 v[10:11], v[81:82], -v[0:1]
	v_fma_f64 v[95:96], v[24:25], s[4:5], v[85:86]
	v_add_f64 v[8:9], v[83:84], v[8:9]
	v_fma_f64 v[2:3], v[52:53], s[10:11], v[2:3]
	v_fma_f64 v[4:5], v[60:61], s[0:1], v[16:17]
	;; [unrolled: 1-line block ×10, first 2 shown]
	v_fma_f64 v[38:39], v[58:59], 2.0, -v[6:7]
	v_add_f64 v[26:27], v[91:92], -v[42:43]
	v_add_f64 v[24:25], v[93:94], -v[20:21]
	v_fma_f64 v[42:43], v[81:82], 2.0, -v[10:11]
	v_fma_f64 v[20:21], v[46:47], s[0:1], v[95:96]
	v_fma_f64 v[30:31], v[40:41], s[10:11], v[101:102]
	v_fma_f64 v[40:41], v[83:84], 2.0, -v[8:9]
	v_fma_f64 v[32:33], v[56:57], 2.0, -v[0:1]
	v_fma_f64 v[28:29], v[34:35], s[12:13], v[103:104]
	v_fma_f64 v[34:35], v[36:37], 2.0, -v[2:3]
	v_fma_f64 v[36:37], v[79:80], 2.0, -v[4:5]
	;; [unrolled: 1-line block ×12, first 2 shown]
	ds_write_b128 v65, v[8:11] offset:192
	ds_write_b128 v65, v[4:7] offset:224
	;; [unrolled: 1-line block ×9, first 2 shown]
	ds_write_b128 v65, v[56:59]
	ds_write_b128 v65, v[52:55] offset:32
	ds_write_b128 v65, v[48:51] offset:48
	;; [unrolled: 1-line block ×6, first 2 shown]
.LBB0_19:
	s_or_b32 exec_lo, exec_lo, s14
	v_and_b32_e32 v20, 15, v64
	v_and_b32_e32 v22, 15, v68
	s_waitcnt lgkmcnt(0)
	s_barrier
	buffer_gl0_inv
	v_lshlrev_b32_e32 v0, 5, v20
	v_lshlrev_b32_e32 v1, 5, v22
	v_and_b32_e32 v21, 15, v72
	v_and_b32_e32 v23, 15, v70
	v_mov_b32_e32 v65, 0xaaab
	s_clause 0x2
	global_load_dwordx4 v[16:19], v0, s[8:9]
	global_load_dwordx4 v[24:27], v0, s[8:9] offset:16
	global_load_dwordx4 v[28:31], v1, s[8:9]
	v_lshlrev_b32_e32 v0, 5, v21
	v_lshrrev_b32_e32 v63, 4, v70
	s_clause 0x1
	global_load_dwordx4 v[32:35], v1, s[8:9] offset:16
	global_load_dwordx4 v[36:39], v0, s[8:9]
	v_lshlrev_b32_e32 v1, 5, v23
	s_clause 0x2
	global_load_dwordx4 v[40:43], v0, s[8:9] offset:16
	global_load_dwordx4 v[44:47], v1, s[8:9]
	global_load_dwordx4 v[49:52], v1, s[8:9] offset:16
	ds_read_b128 v[53:56], v74 offset:20736
	ds_read_b128 v[57:60], v74 offset:41472
	;; [unrolled: 1-line block ×9, first 2 shown]
	ds_read_b128 v[8:11], v74
	ds_read_b128 v[12:15], v74 offset:5184
	ds_read_b128 v[4:7], v74 offset:10368
	s_mov_b32 s4, 0xe8584caa
	s_mov_b32 s5, 0xbfebb67a
	;; [unrolled: 1-line block ×4, first 2 shown]
	v_mov_b32_e32 v48, 5
	v_mul_u32_u24_sdwa v73, v72, v65 dst_sel:DWORD dst_unused:UNUSED_PAD src0_sel:WORD_0 src1_sel:DWORD
	s_waitcnt vmcnt(0) lgkmcnt(0)
	s_barrier
	buffer_gl0_inv
	v_mul_f64 v[99:100], v[59:60], v[26:27]
	v_mul_f64 v[61:62], v[55:56], v[18:19]
	;; [unrolled: 1-line block ×9, first 2 shown]
	v_fma_f64 v[53:54], v[53:54], v[16:17], v[61:62]
	v_fma_f64 v[55:56], v[55:56], v[16:17], -v[18:19]
	v_mul_f64 v[61:62], v[85:86], v[38:39]
	v_mul_f64 v[38:39], v[83:84], v[38:39]
	v_fma_f64 v[18:19], v[57:58], v[24:25], v[99:100]
	v_fma_f64 v[16:17], v[59:60], v[24:25], -v[26:27]
	v_mul_f64 v[24:25], v[91:92], v[42:43]
	v_mul_f64 v[26:27], v[89:90], v[46:47]
	;; [unrolled: 1-line block ×4, first 2 shown]
	v_fma_f64 v[57:58], v[75:76], v[28:29], v[101:102]
	v_fma_f64 v[28:29], v[77:78], v[28:29], -v[30:31]
	v_mul_f64 v[30:31], v[95:96], v[51:52]
	v_lshrrev_b32_e32 v59, 4, v72
	v_lshrrev_b32_e32 v52, 4, v68
	;; [unrolled: 1-line block ×3, first 2 shown]
	v_mul_u32_u24_e32 v71, 48, v59
	v_fma_f64 v[59:60], v[79:80], v[32:33], v[103:104]
	v_fma_f64 v[32:33], v[81:82], v[32:33], -v[34:35]
	v_mul_u32_u24_e32 v52, 48, v52
	v_add_f64 v[81:82], v[8:9], v[53:54]
	v_mul_u32_u24_e32 v51, 48, v51
	v_fma_f64 v[34:35], v[83:84], v[36:37], v[61:62]
	v_fma_f64 v[36:37], v[85:86], v[36:37], -v[38:39]
	v_fma_f64 v[38:39], v[91:92], v[40:41], v[105:106]
	v_mul_u32_u24_sdwa v61, v64, v65 dst_sel:DWORD dst_unused:UNUSED_PAD src0_sel:WORD_0 src1_sel:DWORD
	v_fma_f64 v[24:25], v[93:94], v[40:41], -v[24:25]
	v_fma_f64 v[26:27], v[87:88], v[44:45], v[26:27]
	v_fma_f64 v[40:41], v[95:96], v[49:50], v[42:43]
	v_fma_f64 v[42:43], v[89:90], v[44:45], -v[46:47]
	v_add_f64 v[44:45], v[53:54], v[18:19]
	v_add_f64 v[46:47], v[55:56], v[16:17]
	v_fma_f64 v[30:31], v[97:98], v[49:50], -v[30:31]
	v_lshrrev_b32_e32 v50, 21, v61
	v_add_f64 v[83:84], v[10:11], v[55:56]
	v_or_b32_e32 v22, v52, v22
	v_add_f64 v[91:92], v[14:15], v[28:29]
	v_add_f64 v[55:56], v[55:56], -v[16:17]
	v_add_f64 v[52:53], v[53:54], -v[18:19]
	v_add_f64 v[61:62], v[57:58], v[59:60]
	v_add_f64 v[75:76], v[28:29], v[32:33]
	v_add_f64 v[101:102], v[28:29], -v[32:33]
	v_add_f64 v[87:88], v[12:13], v[57:58]
	v_mul_u32_u24_e32 v49, 48, v63
	v_add_f64 v[93:94], v[4:5], v[34:35]
	v_add_f64 v[95:96], v[6:7], v[36:37]
	;; [unrolled: 1-line block ×3, first 2 shown]
	v_mul_u32_u24_sdwa v63, v68, v65 dst_sel:DWORD dst_unused:UNUSED_PAD src0_sel:WORD_0 src1_sel:DWORD
	v_add_f64 v[79:80], v[36:37], v[24:25]
	v_add_f64 v[97:98], v[0:1], v[26:27]
	;; [unrolled: 1-line block ×4, first 2 shown]
	v_fma_f64 v[44:45], v[44:45], -0.5, v[8:9]
	v_fma_f64 v[28:29], v[46:47], -0.5, v[10:11]
	v_add_f64 v[89:90], v[42:43], v[30:31]
	v_add_f64 v[46:47], v[57:58], -v[59:60]
	v_add_f64 v[103:104], v[42:43], -v[30:31]
	v_or_b32_e32 v20, v51, v20
	v_lshrrev_b32_e32 v51, 21, v63
	v_mul_lo_u16 v63, v50, 48
	v_or_b32_e32 v23, v49, v23
	v_fma_f64 v[57:58], v[61:62], -0.5, v[12:13]
	v_add_f64 v[61:62], v[36:37], -v[24:25]
	v_fma_f64 v[36:37], v[75:76], -0.5, v[14:15]
	v_add_f64 v[75:76], v[34:35], -v[38:39]
	v_mul_lo_u16 v49, v51, 48
	v_add_f64 v[8:9], v[93:94], v[38:39]
	v_add_f64 v[10:11], v[95:96], v[24:25]
	v_fma_f64 v[77:78], v[77:78], -0.5, v[4:5]
	v_add_f64 v[4:5], v[87:88], v[59:60]
	v_fma_f64 v[42:43], v[79:80], -0.5, v[6:7]
	v_add_f64 v[79:80], v[26:27], -v[40:41]
	v_fma_f64 v[85:86], v[85:86], -0.5, v[0:1]
	v_add_f64 v[0:1], v[81:82], v[18:19]
	v_fma_f64 v[24:25], v[55:56], s[6:7], v[44:45]
	v_fma_f64 v[18:19], v[52:53], s[6:7], v[28:29]
	v_fma_f64 v[81:82], v[89:90], -0.5, v[2:3]
	v_add_f64 v[2:3], v[83:84], v[16:17]
	v_fma_f64 v[16:17], v[55:56], s[4:5], v[44:45]
	v_fma_f64 v[26:27], v[52:53], s[4:5], v[28:29]
	v_add_f64 v[6:7], v[91:92], v[32:33]
	v_add_f64 v[14:15], v[99:100], v[30:31]
	;; [unrolled: 1-line block ×3, first 2 shown]
	v_fma_f64 v[28:29], v[101:102], s[4:5], v[57:58]
	v_fma_f64 v[32:33], v[101:102], s[6:7], v[57:58]
	;; [unrolled: 1-line block ×4, first 2 shown]
	v_sub_nc_u16 v52, v64, v63
	v_or_b32_e32 v21, v71, v21
	v_lshl_add_u32 v20, v20, 4, 0
	v_fma_f64 v[36:37], v[61:62], s[4:5], v[77:78]
	v_fma_f64 v[40:41], v[61:62], s[6:7], v[77:78]
	;; [unrolled: 1-line block ×6, first 2 shown]
	v_sub_nc_u16 v53, v68, v49
	v_lshlrev_b32_sdwa v49, v48, v52 dst_sel:DWORD dst_unused:UNUSED_PAD src0_sel:DWORD src1_sel:WORD_0
	v_fma_f64 v[46:47], v[79:80], s[6:7], v[81:82]
	v_fma_f64 v[56:57], v[79:80], s[4:5], v[81:82]
	v_lshl_add_u32 v22, v22, 4, 0
	v_lshl_add_u32 v21, v21, 4, 0
	;; [unrolled: 1-line block ×3, first 2 shown]
	ds_write_b128 v20, v[0:3]
	ds_write_b128 v20, v[16:19] offset:256
	ds_write_b128 v20, v[24:27] offset:512
	ds_write_b128 v22, v[4:7]
	ds_write_b128 v22, v[28:31] offset:256
	ds_write_b128 v22, v[32:35] offset:512
	;; [unrolled: 3-line block ×4, first 2 shown]
	s_waitcnt lgkmcnt(0)
	s_barrier
	buffer_gl0_inv
	s_clause 0x1
	global_load_dwordx4 v[20:23], v49, s[8:9] offset:512
	global_load_dwordx4 v[16:19], v49, s[8:9] offset:528
	v_mul_u32_u24_sdwa v1, v70, v65 dst_sel:DWORD dst_unused:UNUSED_PAD src0_sel:WORD_0 src1_sel:DWORD
	v_lshrrev_b32_e32 v56, 21, v73
	v_lshlrev_b32_sdwa v0, v48, v53 dst_sel:DWORD dst_unused:UNUSED_PAD src0_sel:DWORD src1_sel:WORD_0
	v_mul_u32_u24_e32 v50, 0x900, v50
	v_mul_u32_u24_e32 v51, 0x900, v51
	v_lshrrev_b32_e32 v57, 21, v1
	v_mul_lo_u16 v2, v56, 48
	global_load_dwordx4 v[44:47], v0, s[8:9] offset:512
	v_mov_b32_e32 v49, 0xe38f
	v_mul_u32_u24_e32 v56, 0x900, v56
	v_mul_lo_u16 v1, v57, 48
	v_sub_nc_u16 v54, v72, v2
	v_mul_u32_u24_sdwa v65, v68, v49 dst_sel:DWORD dst_unused:UNUSED_PAD src0_sel:WORD_0 src1_sel:DWORD
	v_mul_u32_u24_sdwa v71, v72, v49 dst_sel:DWORD dst_unused:UNUSED_PAD src0_sel:WORD_0 src1_sel:DWORD
	v_sub_nc_u16 v55, v70, v1
	v_lshlrev_b32_sdwa v2, v48, v54 dst_sel:DWORD dst_unused:UNUSED_PAD src0_sel:DWORD src1_sel:WORD_0
	s_clause 0x1
	global_load_dwordx4 v[32:35], v0, s[8:9] offset:528
	global_load_dwordx4 v[28:31], v2, s[8:9] offset:512
	v_lshlrev_b32_sdwa v0, v48, v55 dst_sel:DWORD dst_unused:UNUSED_PAD src0_sel:DWORD src1_sel:WORD_0
	s_clause 0x2
	global_load_dwordx4 v[24:27], v2, s[8:9] offset:528
	global_load_dwordx4 v[8:11], v0, s[8:9] offset:512
	;; [unrolled: 1-line block ×3, first 2 shown]
	ds_read_b128 v[58:61], v74 offset:20736
	ds_read_b128 v[75:78], v74 offset:41472
	;; [unrolled: 1-line block ×9, first 2 shown]
	ds_read_b128 v[91:94], v74
	v_mul_u32_u24_sdwa v73, v70, v49 dst_sel:DWORD dst_unused:UNUSED_PAD src0_sel:WORD_0 src1_sel:DWORD
	s_waitcnt vmcnt(7) lgkmcnt(9)
	v_mul_f64 v[62:63], v[60:61], v[22:23]
	v_mul_f64 v[22:23], v[58:59], v[22:23]
	s_waitcnt vmcnt(6) lgkmcnt(8)
	v_mul_f64 v[95:96], v[77:78], v[18:19]
	v_mul_f64 v[18:19], v[75:76], v[18:19]
	;; [unrolled: 3-line block ×3, first 2 shown]
	v_mov_b32_e32 v46, 4
	v_mul_u32_u24_sdwa v47, v64, v49 dst_sel:DWORD dst_unused:UNUSED_PAD src0_sel:WORD_0 src1_sel:DWORD
	v_lshrrev_b32_e32 v49, 23, v65
	v_mul_u32_u24_e32 v65, 0x900, v57
	v_lshlrev_b32_sdwa v101, v46, v55 dst_sel:DWORD dst_unused:UNUSED_PAD src0_sel:DWORD src1_sel:WORD_0
	v_lshrrev_b32_e32 v47, 23, v47
	v_mul_lo_u16 v57, 0x90, v49
	v_fma_f64 v[58:59], v[58:59], v[20:21], v[62:63]
	v_fma_f64 v[20:21], v[60:61], v[20:21], -v[22:23]
	s_waitcnt vmcnt(4) lgkmcnt(5)
	v_mul_f64 v[22:23], v[38:39], v[34:35]
	v_mul_f64 v[34:35], v[36:37], v[34:35]
	s_waitcnt vmcnt(3) lgkmcnt(3)
	v_mul_f64 v[60:61], v[42:43], v[30:31]
	v_mul_f64 v[30:31], v[40:41], v[30:31]
	v_fma_f64 v[62:63], v[75:76], v[16:17], v[95:96]
	v_fma_f64 v[16:17], v[77:78], v[16:17], -v[18:19]
	s_waitcnt vmcnt(2) lgkmcnt(2)
	v_mul_f64 v[18:19], v[85:86], v[26:27]
	v_mul_f64 v[26:27], v[83:84], v[26:27]
	s_waitcnt vmcnt(1)
	v_mul_f64 v[75:76], v[14:15], v[10:11]
	s_waitcnt vmcnt(0) lgkmcnt(1)
	v_mul_f64 v[77:78], v[89:90], v[6:7]
	v_mul_f64 v[10:11], v[12:13], v[10:11]
	;; [unrolled: 1-line block ×3, first 2 shown]
	v_fma_f64 v[79:80], v[79:80], v[44:45], v[97:98]
	v_fma_f64 v[81:82], v[81:82], v[44:45], -v[99:100]
	v_mul_lo_u16 v44, 0x90, v47
	v_lshrrev_b32_e32 v45, 23, v71
	v_sub_nc_u16 v44, v64, v44
	v_mul_lo_u16 v71, 0x90, v45
	v_mul_u32_u24_e32 v113, 0x1b00, v45
	v_fma_f64 v[22:23], v[36:37], v[32:33], v[22:23]
	v_fma_f64 v[32:33], v[38:39], v[32:33], -v[34:35]
	v_fma_f64 v[34:35], v[40:41], v[28:29], v[60:61]
	v_fma_f64 v[28:29], v[42:43], v[28:29], -v[30:31]
	v_lshlrev_b32_sdwa v41, v46, v52 dst_sel:DWORD dst_unused:UNUSED_PAD src0_sel:DWORD src1_sel:WORD_0
	v_lshlrev_b32_sdwa v43, v46, v53 dst_sel:DWORD dst_unused:UNUSED_PAD src0_sel:DWORD src1_sel:WORD_0
	v_fma_f64 v[18:19], v[83:84], v[24:25], v[18:19]
	v_fma_f64 v[24:25], v[85:86], v[24:25], -v[26:27]
	v_fma_f64 v[12:13], v[12:13], v[8:9], v[75:76]
	v_fma_f64 v[26:27], v[87:88], v[4:5], v[77:78]
	v_fma_f64 v[14:15], v[14:15], v[8:9], -v[10:11]
	v_fma_f64 v[30:31], v[89:90], v[4:5], -v[6:7]
	ds_read_b128 v[4:7], v74 offset:5184
	v_add_f64 v[37:38], v[58:59], v[62:63]
	v_add_f64 v[39:40], v[20:21], v[16:17]
	v_lshlrev_b32_sdwa v52, v46, v54 dst_sel:DWORD dst_unused:UNUSED_PAD src0_sel:DWORD src1_sel:WORD_0
	ds_read_b128 v[8:11], v74 offset:10368
	v_add3_u32 v104, 0, v50, v41
	v_add3_u32 v43, 0, v51, v43
	v_sub_nc_u16 v36, v68, v57
	v_add3_u32 v105, 0, v56, v52
	s_waitcnt lgkmcnt(2)
	v_add_f64 v[56:57], v[91:92], v[58:59]
	v_add_f64 v[41:42], v[79:80], v[22:23]
	;; [unrolled: 1-line block ×4, first 2 shown]
	v_add_f64 v[20:21], v[20:21], -v[16:17]
	v_add_f64 v[58:59], v[58:59], -v[62:63]
	v_lshlrev_b32_sdwa v102, v48, v44 dst_sel:DWORD dst_unused:UNUSED_PAD src0_sel:DWORD src1_sel:WORD_0
	v_add_f64 v[52:53], v[34:35], v[18:19]
	v_add_f64 v[54:55], v[28:29], v[24:25]
	;; [unrolled: 1-line block ×4, first 2 shown]
	s_waitcnt lgkmcnt(1)
	v_add_f64 v[77:78], v[4:5], v[79:80]
	v_add_f64 v[83:84], v[14:15], v[30:31]
	v_add_f64 v[85:86], v[6:7], v[81:82]
	v_fma_f64 v[37:38], v[37:38], -0.5, v[91:92]
	s_waitcnt lgkmcnt(0)
	v_add_f64 v[87:88], v[8:9], v[34:35]
	v_fma_f64 v[39:40], v[39:40], -0.5, v[93:94]
	v_add_f64 v[89:90], v[10:11], v[28:29]
	v_add_f64 v[81:82], v[81:82], -v[32:33]
	v_add_f64 v[79:80], v[79:80], -v[22:23]
	v_add_f64 v[97:98], v[2:3], v[14:15]
	v_add_f64 v[91:92], v[28:29], -v[24:25]
	v_add_f64 v[93:94], v[34:35], -v[18:19]
	v_fma_f64 v[41:42], v[41:42], -0.5, v[4:5]
	v_fma_f64 v[50:51], v[50:51], -0.5, v[6:7]
	v_add_f64 v[99:100], v[12:13], -v[26:27]
	v_lshlrev_b32_sdwa v103, v48, v36 dst_sel:DWORD dst_unused:UNUSED_PAD src0_sel:DWORD src1_sel:WORD_0
	s_barrier
	v_fma_f64 v[34:35], v[52:53], -0.5, v[8:9]
	v_fma_f64 v[54:55], v[54:55], -0.5, v[10:11]
	v_add_f64 v[52:53], v[14:15], -v[30:31]
	v_fma_f64 v[75:76], v[75:76], -0.5, v[0:1]
	v_add_f64 v[0:1], v[56:57], v[62:63]
	v_fma_f64 v[56:57], v[83:84], -0.5, v[2:3]
	v_add_f64 v[2:3], v[60:61], v[16:17]
	v_fma_f64 v[16:17], v[20:21], s[4:5], v[37:38]
	v_add_f64 v[8:9], v[87:88], v[18:19]
	v_fma_f64 v[18:19], v[58:59], s[6:7], v[39:40]
	;; [unrolled: 2-line block ×3, first 2 shown]
	v_fma_f64 v[22:23], v[58:59], s[4:5], v[39:40]
	v_add_f64 v[6:7], v[85:86], v[32:33]
	v_add_f64 v[10:11], v[89:90], v[24:25]
	;; [unrolled: 1-line block ×3, first 2 shown]
	v_fma_f64 v[24:25], v[81:82], s[4:5], v[41:42]
	v_fma_f64 v[26:27], v[79:80], s[6:7], v[50:51]
	v_add_f64 v[14:15], v[97:98], v[30:31]
	v_fma_f64 v[28:29], v[81:82], s[6:7], v[41:42]
	v_fma_f64 v[30:31], v[79:80], s[4:5], v[50:51]
	v_add_co_u32 v41, s0, s8, v102
	v_fma_f64 v[32:33], v[91:92], s[4:5], v[34:35]
	v_fma_f64 v[37:38], v[91:92], s[6:7], v[34:35]
	;; [unrolled: 1-line block ×8, first 2 shown]
	v_add_co_ci_u32_e64 v42, null, s9, 0, s0
	v_add_co_u32 v41, s0, 0x800, v41
	v_add3_u32 v58, 0, v65, v101
	v_add_co_ci_u32_e64 v42, s0, 0, v42, s0
	buffer_gl0_inv
	ds_write_b128 v104, v[0:3]
	ds_write_b128 v104, v[16:19] offset:768
	ds_write_b128 v104, v[20:23] offset:1536
	ds_write_b128 v43, v[4:7]
	ds_write_b128 v43, v[24:27] offset:768
	ds_write_b128 v43, v[28:31] offset:1536
	;; [unrolled: 3-line block ×4, first 2 shown]
	v_add_co_u32 v0, s0, s8, v103
	v_lshrrev_b32_e32 v40, 23, v73
	v_add_co_ci_u32_e64 v1, null, s9, 0, s0
	v_sub_nc_u16 v38, v72, v71
	v_add_co_u32 v0, s0, 0x800, v0
	s_waitcnt lgkmcnt(0)
	s_barrier
	buffer_gl0_inv
	global_load_dwordx4 v[28:31], v[41:42], off
	v_add_co_ci_u32_e64 v1, s0, 0, v1, s0
	v_mul_lo_u16 v2, 0x90, v40
	global_load_dwordx4 v[16:19], v[41:42], off offset:16
	v_lshlrev_b32_sdwa v3, v48, v38 dst_sel:DWORD dst_unused:UNUSED_PAD src0_sel:DWORD src1_sel:WORD_0
	s_clause 0x1
	global_load_dwordx4 v[24:27], v[0:1], off
	global_load_dwordx4 v[20:23], v[0:1], off offset:16
	v_sub_nc_u16 v39, v70, v2
	v_add_nc_u32_e32 v37, 0xffffff94, v64
	v_add_co_u32 v0, s0, s8, v3
	v_add_co_ci_u32_e64 v1, null, s9, 0, s0
	v_lshlrev_b32_sdwa v2, v48, v39 dst_sel:DWORD dst_unused:UNUSED_PAD src0_sel:DWORD src1_sel:WORD_0
	v_add_co_u32 v4, s0, 0x800, v0
	v_add_co_ci_u32_e64 v5, s0, 0, v1, s0
	v_add_co_u32 v6, s0, s8, v2
	v_add_co_ci_u32_e64 v7, null, s9, 0, s0
	global_load_dwordx4 v[0:3], v[4:5], off
	v_add_co_u32 v12, s0, 0x800, v6
	v_add_co_ci_u32_e64 v13, s0, 0, v7, s0
	s_clause 0x2
	global_load_dwordx4 v[4:7], v[4:5], off offset:16
	global_load_dwordx4 v[8:11], v[12:13], off
	global_load_dwordx4 v[12:15], v[12:13], off offset:16
	ds_read_b128 v[32:35], v74 offset:20736
	ds_read_b128 v[50:53], v74 offset:41472
	v_lshrrev_b16 v43, 4, v72
	v_mov_b32_e32 v54, 0x12f7
	v_lshrrev_b16 v55, 4, v70
	v_cmp_gt_u32_e64 s0, 0x6c, v64
	v_lshlrev_b32_e32 v41, 1, v64
	v_mov_b32_e32 v42, v69
	v_mul_u32_u24_e32 v71, 0x1b00, v47
	v_mul_u32_u24_e32 v73, 0x1b00, v49
	v_cndmask_b32_e64 v65, v37, v68, s0
	v_mul_u32_u24_sdwa v37, v43, v54 dst_sel:DWORD dst_unused:UNUSED_PAD src0_sel:WORD_0 src1_sel:DWORD
	v_mul_u32_u24_sdwa v43, v55, v54 dst_sel:DWORD dst_unused:UNUSED_PAD src0_sel:WORD_0 src1_sel:DWORD
	ds_read_b128 v[54:57], v74 offset:25920
	ds_read_b128 v[58:61], v74 offset:15552
	;; [unrolled: 1-line block ×3, first 2 shown]
	v_lshlrev_b64 v[41:42], 4, v[41:42]
	ds_read_b128 v[79:82], v74 offset:36288
	ds_read_b128 v[83:86], v74 offset:31104
	;; [unrolled: 1-line block ×4, first 2 shown]
	v_lshrrev_b32_e32 v43, 17, v43
	v_mul_u32_u24_e32 v114, 0x1b00, v40
	v_mov_b32_e32 v98, v69
	v_lshlrev_b32_e32 v97, 1, v65
	v_lshrrev_b32_e32 v37, 17, v37
	v_mul_lo_u16 v47, 0x1b0, v43
	v_lshlrev_b32_sdwa v115, v46, v38 dst_sel:DWORD dst_unused:UNUSED_PAD src0_sel:DWORD src1_sel:WORD_0
	v_lshlrev_b32_sdwa v116, v46, v39 dst_sel:DWORD dst_unused:UNUSED_PAD src0_sel:DWORD src1_sel:WORD_0
	;; [unrolled: 1-line block ×3, first 2 shown]
	v_mul_lo_u16 v45, 0x1b0, v37
	v_lshlrev_b32_e32 v68, 1, v68
	v_add3_u32 v36, 0, v73, v36
	s_waitcnt vmcnt(7) lgkmcnt(8)
	v_mul_f64 v[62:63], v[34:35], v[30:31]
	v_mul_f64 v[95:96], v[32:33], v[30:31]
	v_add_co_u32 v30, s0, s8, v41
	v_add_co_ci_u32_e64 v31, s0, s9, v42, s0
	s_waitcnt vmcnt(6) lgkmcnt(7)
	v_mul_f64 v[41:42], v[52:53], v[18:19]
	v_mul_f64 v[18:19], v[50:51], v[18:19]
	s_waitcnt vmcnt(5) lgkmcnt(6)
	v_mul_f64 v[99:100], v[56:57], v[26:27]
	v_mul_f64 v[26:27], v[54:55], v[26:27]
	;; [unrolled: 3-line block ×3, first 2 shown]
	v_fma_f64 v[32:33], v[32:33], v[28:29], v[62:63]
	v_fma_f64 v[28:29], v[34:35], v[28:29], -v[95:96]
	v_lshlrev_b64 v[34:35], 4, v[97:98]
	v_add_co_u32 v62, s0, 0x1a00, v30
	v_add_co_ci_u32_e64 v63, s0, 0, v31, s0
	v_fma_f64 v[40:41], v[50:51], v[16:17], v[41:42]
	v_fma_f64 v[42:43], v[52:53], v[16:17], -v[18:19]
	ds_read_b128 v[16:19], v74
	s_waitcnt vmcnt(3) lgkmcnt(3)
	v_mul_f64 v[49:50], v[85:86], v[2:3]
	v_mul_f64 v[2:3], v[83:84], v[2:3]
	s_waitcnt vmcnt(2) lgkmcnt(2)
	v_mul_f64 v[51:52], v[89:90], v[6:7]
	v_mul_f64 v[6:7], v[87:88], v[6:7]
	v_fma_f64 v[53:54], v[54:55], v[24:25], v[99:100]
	v_fma_f64 v[26:27], v[56:57], v[24:25], -v[26:27]
	s_waitcnt vmcnt(1)
	v_mul_f64 v[55:56], v[81:82], v[10:11]
	v_mul_f64 v[10:11], v[79:80], v[10:11]
	s_waitcnt vmcnt(0) lgkmcnt(1)
	v_mul_f64 v[95:96], v[93:94], v[14:15]
	v_mul_f64 v[14:15], v[91:92], v[14:15]
	v_fma_f64 v[75:76], v[75:76], v[20:21], v[101:102]
	v_fma_f64 v[20:21], v[77:78], v[20:21], -v[22:23]
	v_add_co_u32 v77, s0, 0x1800, v30
	v_sub_nc_u16 v22, v70, v47
	v_add_co_ci_u32_e64 v78, s0, 0, v31, s0
	v_sub_nc_u16 v25, v72, v45
	v_add_co_u32 v57, s0, s8, v34
	v_add_co_ci_u32_e64 v97, s0, s9, v35, s0
	v_lshlrev_b32_sdwa v98, v46, v44 dst_sel:DWORD dst_unused:UNUSED_PAD src0_sel:DWORD src1_sel:WORD_0
	v_and_b32_e32 v24, 0xffff, v22
	v_fma_f64 v[22:23], v[83:84], v[0:1], v[49:50]
	v_fma_f64 v[34:35], v[85:86], v[0:1], -v[2:3]
	v_fma_f64 v[38:39], v[87:88], v[4:5], v[51:52]
	v_fma_f64 v[44:45], v[89:90], v[4:5], -v[6:7]
	v_lshlrev_b32_sdwa v117, v48, v25 dst_sel:DWORD dst_unused:UNUSED_PAD src0_sel:DWORD src1_sel:WORD_0
	v_fma_f64 v[47:48], v[79:80], v[8:9], v[55:56]
	v_fma_f64 v[8:9], v[81:82], v[8:9], -v[10:11]
	v_fma_f64 v[49:50], v[91:92], v[12:13], v[95:96]
	v_fma_f64 v[14:15], v[93:94], v[12:13], -v[14:15]
	v_add_f64 v[10:11], v[32:33], v[40:41]
	v_add_f64 v[12:13], v[28:29], v[42:43]
	ds_read_b128 v[0:3], v74 offset:5184
	ds_read_b128 v[4:7], v74 offset:10368
	v_add_f64 v[51:52], v[53:54], v[75:76]
	v_add_f64 v[81:82], v[26:27], v[20:21]
	v_add_co_u32 v55, s0, 0x1a00, v57
	v_add_co_ci_u32_e64 v56, s0, 0, v97, s0
	v_add_co_u32 v79, s0, 0x1800, v57
	s_waitcnt lgkmcnt(2)
	v_add_f64 v[85:86], v[16:17], v[32:33]
	v_add_f64 v[89:90], v[18:19], v[28:29]
	v_add_co_ci_u32_e64 v80, s0, 0, v97, s0
	v_add_f64 v[83:84], v[22:23], v[38:39]
	v_add_f64 v[87:88], v[34:35], v[44:45]
	v_add3_u32 v71, 0, v71, v98
	v_add_f64 v[107:108], v[34:35], -v[44:45]
	s_waitcnt lgkmcnt(0)
	v_add_f64 v[91:92], v[47:48], v[49:50]
	v_add_f64 v[93:94], v[8:9], v[14:15]
	;; [unrolled: 1-line block ×3, first 2 shown]
	v_fma_f64 v[103:104], v[10:11], -0.5, v[16:17]
	v_fma_f64 v[105:106], v[12:13], -0.5, v[18:19]
	v_add_f64 v[16:17], v[60:61], v[8:9]
	v_add_f64 v[18:19], v[28:29], -v[42:43]
	v_add_f64 v[28:29], v[32:33], -v[40:41]
	v_add_f64 v[95:96], v[0:1], v[53:54]
	v_add_f64 v[101:102], v[6:7], v[34:35]
	v_add_f64 v[32:33], v[26:27], -v[20:21]
	v_add_f64 v[53:54], v[53:54], -v[75:76]
	v_fma_f64 v[51:52], v[51:52], -0.5, v[0:1]
	v_fma_f64 v[34:35], v[81:82], -0.5, v[2:3]
	v_add_f64 v[99:100], v[4:5], v[22:23]
	v_add_f64 v[81:82], v[22:23], -v[38:39]
	v_add_f64 v[12:13], v[58:59], v[47:48]
	v_fma_f64 v[83:84], v[83:84], -0.5, v[4:5]
	v_fma_f64 v[87:88], v[87:88], -0.5, v[6:7]
	v_add_f64 v[109:110], v[8:9], -v[14:15]
	v_add_f64 v[111:112], v[47:48], -v[49:50]
	v_add_f64 v[2:3], v[89:90], v[42:43]
	v_fma_f64 v[57:58], v[91:92], -0.5, v[58:59]
	v_fma_f64 v[59:60], v[93:94], -0.5, v[60:61]
	v_add_f64 v[0:1], v[85:86], v[40:41]
	v_add_f64 v[6:7], v[97:98], v[20:21]
	s_barrier
	v_add_f64 v[14:15], v[16:17], v[14:15]
	v_fma_f64 v[16:17], v[18:19], s[4:5], v[103:104]
	v_fma_f64 v[20:21], v[18:19], s[6:7], v[103:104]
	;; [unrolled: 1-line block ×4, first 2 shown]
	v_add_f64 v[4:5], v[95:96], v[75:76]
	v_add_f64 v[10:11], v[101:102], v[44:45]
	v_fma_f64 v[26:27], v[32:33], s[4:5], v[51:52]
	v_fma_f64 v[28:29], v[53:54], s[6:7], v[34:35]
	v_fma_f64 v[32:33], v[32:33], s[6:7], v[51:52]
	v_fma_f64 v[34:35], v[53:54], s[4:5], v[34:35]
	v_add_f64 v[8:9], v[99:100], v[38:39]
	v_fma_f64 v[38:39], v[107:108], s[4:5], v[83:84]
	v_fma_f64 v[40:41], v[81:82], s[6:7], v[87:88]
	v_fma_f64 v[42:43], v[107:108], s[6:7], v[83:84]
	v_fma_f64 v[44:45], v[81:82], s[4:5], v[87:88]
	;; [unrolled: 5-line block ×3, first 2 shown]
	v_add3_u32 v57, 0, v113, v115
	v_add3_u32 v58, 0, v114, v116
	buffer_gl0_inv
	ds_write_b128 v71, v[0:3]
	ds_write_b128 v71, v[16:19] offset:2304
	ds_write_b128 v71, v[20:23] offset:4608
	ds_write_b128 v36, v[4:7]
	ds_write_b128 v36, v[26:29] offset:2304
	ds_write_b128 v36, v[32:35] offset:4608
	;; [unrolled: 3-line block ×4, first 2 shown]
	s_waitcnt lgkmcnt(0)
	s_barrier
	buffer_gl0_inv
	s_clause 0x1
	global_load_dwordx4 v[26:29], v[77:78], off offset:512
	global_load_dwordx4 v[32:35], v[62:63], off offset:16
	v_add_co_u32 v59, s0, s8, v117
	v_add_co_ci_u32_e64 v60, null, s9, 0, s0
	v_lshlrev_b32_e32 v61, 5, v24
	v_add_co_u32 v4, s0, 0x1a00, v59
	v_add_co_ci_u32_e64 v5, s0, 0, v60, s0
	v_add_co_u32 v6, s0, s8, v61
	v_add_co_ci_u32_e64 v7, null, s9, 0, s0
	v_add_co_u32 v0, s0, 0x1800, v59
	v_add_co_ci_u32_e64 v1, s0, 0, v60, s0
	v_add_co_u32 v8, s0, 0x1800, v6
	v_add_co_ci_u32_e64 v9, s0, 0, v7, s0
	v_add_co_u32 v20, s0, 0x1a00, v6
	s_clause 0x2
	global_load_dwordx4 v[16:19], v[79:80], off offset:512
	global_load_dwordx4 v[12:15], v[55:56], off offset:16
	;; [unrolled: 1-line block ×3, first 2 shown]
	v_add_co_ci_u32_e64 v21, s0, 0, v7, s0
	s_clause 0x2
	global_load_dwordx4 v[4:7], v[4:5], off offset:16
	global_load_dwordx4 v[8:11], v[8:9], off offset:512
	;; [unrolled: 1-line block ×3, first 2 shown]
	ds_read_b128 v[38:41], v74 offset:20736
	ds_read_b128 v[42:45], v74 offset:41472
	;; [unrolled: 1-line block ×9, first 2 shown]
	v_cmp_lt_u32_e64 s0, 0x6b, v64
	v_lshlrev_b64 v[93:94], 4, v[68:69]
	v_lshlrev_b32_e32 v68, 1, v72
	v_lshlrev_b32_e32 v63, 4, v65
	v_lshlrev_b32_sdwa v46, v46, v25 dst_sel:DWORD dst_unused:UNUSED_PAD src0_sel:DWORD src1_sel:WORD_0
	v_cndmask_b32_e64 v36, 0, 0x5100, s0
	v_mul_u32_u24_e32 v65, 0x5100, v37
	v_lshl_add_u32 v103, v24, 4, 0
	v_add3_u32 v63, 0, v36, v63
	v_add3_u32 v65, 0, v65, v46
	s_waitcnt vmcnt(7) lgkmcnt(8)
	v_mul_f64 v[87:88], v[40:41], v[28:29]
	v_mul_f64 v[28:29], v[38:39], v[28:29]
	s_waitcnt vmcnt(6) lgkmcnt(7)
	v_mul_f64 v[89:90], v[44:45], v[34:35]
	v_mul_f64 v[91:92], v[42:43], v[34:35]
	ds_read_b128 v[34:37], v74
	v_fma_f64 v[38:39], v[38:39], v[26:27], v[87:88]
	s_waitcnt vmcnt(5) lgkmcnt(7)
	v_mul_f64 v[71:72], v[49:50], v[18:19]
	v_mul_f64 v[18:19], v[47:48], v[18:19]
	s_waitcnt vmcnt(4) lgkmcnt(5)
	v_mul_f64 v[95:96], v[57:58], v[14:15]
	v_mul_f64 v[14:15], v[55:56], v[14:15]
	;; [unrolled: 3-line block ×3, first 2 shown]
	v_fma_f64 v[25:26], v[40:41], v[26:27], -v[28:29]
	s_waitcnt vmcnt(2) lgkmcnt(2)
	v_mul_f64 v[27:28], v[81:82], v[6:7]
	v_mul_f64 v[6:7], v[79:80], v[6:7]
	s_waitcnt vmcnt(1)
	v_mul_f64 v[40:41], v[77:78], v[10:11]
	s_waitcnt vmcnt(0) lgkmcnt(1)
	v_mul_f64 v[87:88], v[85:86], v[22:23]
	v_mul_f64 v[10:11], v[75:76], v[10:11]
	;; [unrolled: 1-line block ×3, first 2 shown]
	v_fma_f64 v[42:43], v[42:43], v[32:33], v[89:90]
	v_fma_f64 v[32:33], v[44:45], v[32:33], -v[91:92]
	v_add_co_u32 v89, s0, 0x5000, v30
	v_add_co_ci_u32_e64 v90, s0, 0, v31, s0
	v_add_co_u32 v24, s0, s8, v93
	v_lshlrev_b64 v[29:30], 4, v[68:69]
	v_fma_f64 v[44:45], v[47:48], v[16:17], v[71:72]
	v_fma_f64 v[16:17], v[49:50], v[16:17], -v[18:19]
	v_fma_f64 v[18:19], v[55:56], v[12:13], v[95:96]
	v_fma_f64 v[12:13], v[57:58], v[12:13], -v[14:15]
	;; [unrolled: 2-line block ×3, first 2 shown]
	v_lshlrev_b32_e32 v68, 1, v70
	v_fma_f64 v[27:28], v[79:80], v[4:5], v[27:28]
	v_fma_f64 v[48:49], v[81:82], v[4:5], -v[6:7]
	v_fma_f64 v[40:41], v[75:76], v[8:9], v[40:41]
	v_fma_f64 v[55:56], v[83:84], v[20:21], v[87:88]
	v_fma_f64 v[8:9], v[77:78], v[8:9], -v[10:11]
	v_fma_f64 v[20:21], v[85:86], v[20:21], -v[22:23]
	v_add_co_ci_u32_e64 v31, s0, s9, v94, s0
	v_add_f64 v[10:11], v[38:39], v[42:43]
	v_add_f64 v[22:23], v[25:26], v[32:33]
	v_add_co_u32 v59, s0, 0x5000, v24
	ds_read_b128 v[0:3], v74 offset:5184
	ds_read_b128 v[4:7], v74 offset:10368
	v_lshlrev_b64 v[57:58], 4, v[68:69]
	v_add_co_ci_u32_e64 v60, s0, 0, v31, s0
	v_add_f64 v[61:62], v[44:45], v[18:19]
	v_add_f64 v[68:69], v[16:17], v[12:13]
	v_add_co_u32 v104, s0, s8, v29
	v_add_co_ci_u32_e64 v105, s0, s9, v30, s0
	v_add_f64 v[29:30], v[14:15], v[27:28]
	v_add_f64 v[72:73], v[46:47], v[48:49]
	;; [unrolled: 1-line block ×3, first 2 shown]
	s_waitcnt lgkmcnt(2)
	v_add_f64 v[70:71], v[34:35], v[38:39]
	v_add_f64 v[81:82], v[8:9], v[20:21]
	;; [unrolled: 1-line block ×3, first 2 shown]
	v_add_f64 v[24:25], v[25:26], -v[32:33]
	v_add_f64 v[38:39], v[38:39], -v[42:43]
	v_fma_f64 v[34:35], v[10:11], -0.5, v[34:35]
	s_waitcnt lgkmcnt(1)
	v_add_f64 v[79:80], v[0:1], v[44:45]
	v_fma_f64 v[22:23], v[22:23], -0.5, v[36:37]
	v_add_f64 v[93:94], v[53:54], v[8:9]
	v_add_f64 v[83:84], v[2:3], v[16:17]
	s_waitcnt lgkmcnt(0)
	v_add_f64 v[85:86], v[4:5], v[14:15]
	v_add_f64 v[95:96], v[16:17], -v[12:13]
	v_add_f64 v[36:37], v[44:45], -v[18:19]
	v_fma_f64 v[44:45], v[61:62], -0.5, v[0:1]
	v_fma_f64 v[61:62], v[68:69], -0.5, v[2:3]
	v_add_f64 v[87:88], v[6:7], v[46:47]
	v_add_f64 v[46:47], v[46:47], -v[48:49]
	v_add_f64 v[68:69], v[14:15], -v[27:28]
	v_add_f64 v[91:92], v[51:52], v[40:41]
	v_fma_f64 v[97:98], v[29:30], -0.5, v[4:5]
	v_fma_f64 v[72:73], v[72:73], -0.5, v[6:7]
	v_add_f64 v[99:100], v[8:9], -v[20:21]
	v_add_f64 v[101:102], v[40:41], -v[55:56]
	v_fma_f64 v[50:51], v[77:78], -0.5, v[51:52]
	v_fma_f64 v[52:53], v[81:82], -0.5, v[53:54]
	v_add_f64 v[0:1], v[70:71], v[42:43]
	v_add_f64 v[2:3], v[75:76], v[32:33]
	v_fma_f64 v[16:17], v[24:25], s[4:5], v[34:35]
	v_add_f64 v[4:5], v[79:80], v[18:19]
	v_fma_f64 v[18:19], v[38:39], s[6:7], v[22:23]
	;; [unrolled: 2-line block ×3, first 2 shown]
	v_fma_f64 v[22:23], v[38:39], s[4:5], v[22:23]
	v_add_f64 v[6:7], v[83:84], v[12:13]
	v_add_f64 v[8:9], v[85:86], v[27:28]
	v_fma_f64 v[24:25], v[95:96], s[4:5], v[44:45]
	v_fma_f64 v[26:27], v[36:37], s[6:7], v[61:62]
	;; [unrolled: 1-line block ×4, first 2 shown]
	v_add_f64 v[10:11], v[87:88], v[48:49]
	v_add_f64 v[12:13], v[91:92], v[55:56]
	v_fma_f64 v[32:33], v[46:47], s[4:5], v[97:98]
	v_fma_f64 v[34:35], v[68:69], s[6:7], v[72:73]
	;; [unrolled: 1-line block ×8, first 2 shown]
	v_add_co_u32 v48, s0, 0x5000, v104
	v_add_co_ci_u32_e64 v49, s0, 0, v105, s0
	v_add_co_u32 v50, s0, s8, v57
	v_add_co_ci_u32_e64 v51, s0, s9, v58, s0
	s_barrier
	buffer_gl0_inv
	ds_write_b128 v74, v[0:3]
	ds_write_b128 v74, v[16:19] offset:6912
	ds_write_b128 v74, v[20:23] offset:13824
	ds_write_b128 v63, v[4:7]
	ds_write_b128 v63, v[24:27] offset:6912
	ds_write_b128 v63, v[28:31] offset:13824
	;; [unrolled: 3-line block ×3, first 2 shown]
	ds_write_b128 v103, v[12:15] offset:41472
	ds_write_b128 v103, v[40:43] offset:48384
	;; [unrolled: 1-line block ×3, first 2 shown]
	v_add_co_u32 v28, s0, 0x5000, v50
	s_waitcnt lgkmcnt(0)
	s_barrier
	buffer_gl0_inv
	s_clause 0x3
	global_load_dwordx4 v[0:3], v[89:90], off
	global_load_dwordx4 v[4:7], v[89:90], off offset:16
	global_load_dwordx4 v[8:11], v[59:60], off
	global_load_dwordx4 v[12:15], v[59:60], off offset:16
	v_add_co_ci_u32_e64 v29, s0, 0, v51, s0
	s_clause 0x3
	global_load_dwordx4 v[16:19], v[48:49], off
	global_load_dwordx4 v[20:23], v[48:49], off offset:16
	global_load_dwordx4 v[24:27], v[28:29], off
	global_load_dwordx4 v[28:31], v[28:29], off offset:16
	ds_read_b128 v[32:35], v74 offset:20736
	ds_read_b128 v[36:39], v74 offset:41472
	;; [unrolled: 1-line block ×9, first 2 shown]
	ds_read_b128 v[75:78], v74
	s_waitcnt vmcnt(7) lgkmcnt(9)
	v_mul_f64 v[72:73], v[34:35], v[2:3]
	s_waitcnt vmcnt(6) lgkmcnt(8)
	v_mul_f64 v[79:80], v[38:39], v[6:7]
	v_mul_f64 v[2:3], v[32:33], v[2:3]
	v_mul_f64 v[6:7], v[36:37], v[6:7]
	s_waitcnt vmcnt(5) lgkmcnt(7)
	v_mul_f64 v[81:82], v[42:43], v[10:11]
	s_waitcnt vmcnt(4) lgkmcnt(6)
	v_mul_f64 v[83:84], v[46:47], v[14:15]
	v_mul_f64 v[10:11], v[40:41], v[10:11]
	v_mul_f64 v[14:15], v[44:45], v[14:15]
	;; [unrolled: 6-line block ×4, first 2 shown]
	v_fma_f64 v[32:33], v[32:33], v[0:1], v[72:73]
	v_fma_f64 v[36:37], v[36:37], v[4:5], v[79:80]
	v_fma_f64 v[34:35], v[34:35], v[0:1], -v[2:3]
	v_fma_f64 v[38:39], v[38:39], v[4:5], -v[6:7]
	v_fma_f64 v[40:41], v[40:41], v[8:9], v[81:82]
	v_fma_f64 v[44:45], v[44:45], v[12:13], v[83:84]
	v_fma_f64 v[8:9], v[42:43], v[8:9], -v[10:11]
	v_fma_f64 v[10:11], v[46:47], v[12:13], -v[14:15]
	;; [unrolled: 4-line block ×4, first 2 shown]
	ds_read_b128 v[0:3], v74 offset:5184
	ds_read_b128 v[4:7], v74 offset:10368
	s_waitcnt lgkmcnt(0)
	s_barrier
	buffer_gl0_inv
	v_add_f64 v[50:51], v[75:76], v[32:33]
	v_add_f64 v[28:29], v[32:33], v[36:37]
	v_add_f64 v[32:33], v[32:33], -v[36:37]
	v_add_f64 v[30:31], v[34:35], v[38:39]
	v_add_f64 v[54:55], v[34:35], -v[38:39]
	v_add_f64 v[42:43], v[40:41], v[44:45]
	v_add_f64 v[34:35], v[77:78], v[34:35]
	;; [unrolled: 1-line block ×4, first 2 shown]
	v_add_f64 v[85:86], v[12:13], -v[14:15]
	v_add_f64 v[52:53], v[16:17], v[18:19]
	v_add_f64 v[81:82], v[68:69], v[20:21]
	;; [unrolled: 1-line block ×9, first 2 shown]
	v_add_f64 v[40:41], v[40:41], -v[44:45]
	v_add_f64 v[87:88], v[24:25], -v[26:27]
	;; [unrolled: 1-line block ×3, first 2 shown]
	v_fma_f64 v[28:29], v[28:29], -0.5, v[75:76]
	v_add_f64 v[75:76], v[8:9], -v[10:11]
	v_fma_f64 v[30:31], v[30:31], -0.5, v[77:78]
	v_add_f64 v[77:78], v[16:17], -v[18:19]
	v_fma_f64 v[42:43], v[42:43], -0.5, v[0:1]
	v_add_f64 v[0:1], v[50:51], v[36:37]
	v_fma_f64 v[46:47], v[46:47], -0.5, v[2:3]
	v_add_f64 v[2:3], v[34:35], v[38:39]
	v_fma_f64 v[48:49], v[48:49], -0.5, v[4:5]
	v_fma_f64 v[52:53], v[52:53], -0.5, v[6:7]
	v_add_f64 v[12:13], v[81:82], v[22:23]
	v_fma_f64 v[56:57], v[56:57], -0.5, v[68:69]
	v_add_f64 v[4:5], v[60:61], v[44:45]
	;; [unrolled: 2-line block ×3, first 2 shown]
	v_add_f64 v[8:9], v[72:73], v[14:15]
	v_add_f64 v[10:11], v[79:80], v[18:19]
	;; [unrolled: 1-line block ×3, first 2 shown]
	v_fma_f64 v[16:17], v[54:55], s[4:5], v[28:29]
	v_fma_f64 v[20:21], v[54:55], s[6:7], v[28:29]
	;; [unrolled: 1-line block ×16, first 2 shown]
	ds_write_b128 v74, v[0:3]
	ds_write_b128 v74, v[4:7] offset:5184
	ds_write_b128 v74, v[8:11] offset:10368
	;; [unrolled: 1-line block ×11, first 2 shown]
	s_waitcnt lgkmcnt(0)
	s_barrier
	buffer_gl0_inv
	s_and_saveexec_b32 s0, vcc_lo
	s_cbranch_execz .LBB0_21
; %bb.20:
	v_mov_b32_e32 v65, 0
	v_lshl_add_u32 v30, v64, 4, 0
	v_add_nc_u32_e32 v4, 0x144, v64
	v_add_co_u32 v31, vcc_lo, s2, v66
	v_mov_b32_e32 v5, v65
	ds_read_b128 v[0:3], v30
	v_lshlrev_b64 v[12:13], 4, v[64:65]
	v_add_co_ci_u32_e32 v32, vcc_lo, s3, v67, vcc_lo
	v_lshlrev_b64 v[14:15], 4, v[4:5]
	ds_read_b128 v[4:7], v30 offset:5184
	ds_read_b128 v[8:11], v30 offset:10368
	v_add_nc_u32_e32 v16, 0x288, v64
	v_mov_b32_e32 v17, v65
	v_add_co_u32 v18, vcc_lo, v31, v12
	v_add_co_ci_u32_e32 v19, vcc_lo, v32, v13, vcc_lo
	v_lshlrev_b64 v[12:13], 4, v[16:17]
	v_add_co_u32 v16, vcc_lo, v31, v14
	v_add_co_ci_u32_e32 v17, vcc_lo, v32, v15, vcc_lo
	v_add_nc_u32_e32 v22, 0x3cc, v64
	v_add_co_u32 v20, vcc_lo, v31, v12
	v_mov_b32_e32 v23, v65
	v_add_co_ci_u32_e32 v21, vcc_lo, v32, v13, vcc_lo
	ds_read_b128 v[12:15], v30 offset:57024
	s_waitcnt lgkmcnt(3)
	global_store_dwordx4 v[18:19], v[0:3], off
	s_waitcnt lgkmcnt(2)
	global_store_dwordx4 v[16:17], v[4:7], off
	;; [unrolled: 2-line block ×3, first 2 shown]
	v_lshlrev_b64 v[0:1], 4, v[22:23]
	v_add_nc_u32_e32 v8, 0x510, v64
	v_mov_b32_e32 v9, v65
	v_add_nc_u32_e32 v10, 0x654, v64
	v_mov_b32_e32 v11, v65
	v_add_nc_u32_e32 v26, 0x798, v64
	v_add_co_u32 v20, vcc_lo, v31, v0
	v_add_co_ci_u32_e32 v21, vcc_lo, v32, v1, vcc_lo
	ds_read_b128 v[0:3], v30 offset:15552
	ds_read_b128 v[4:7], v30 offset:20736
	v_lshlrev_b64 v[22:23], 4, v[8:9]
	v_lshlrev_b64 v[24:25], 4, v[10:11]
	ds_read_b128 v[8:11], v30 offset:25920
	ds_read_b128 v[16:19], v30 offset:31104
	v_mov_b32_e32 v27, v65
	v_add_nc_u32_e32 v28, 0x8dc, v64
	v_mov_b32_e32 v29, v65
	v_add_co_u32 v22, vcc_lo, v31, v22
	v_lshlrev_b64 v[26:27], 4, v[26:27]
	v_add_co_ci_u32_e32 v23, vcc_lo, v32, v23, vcc_lo
	v_add_co_u32 v24, vcc_lo, v31, v24
	v_add_co_ci_u32_e32 v25, vcc_lo, v32, v25, vcc_lo
	v_add_co_u32 v26, vcc_lo, v31, v26
	v_add_co_ci_u32_e32 v27, vcc_lo, v32, v27, vcc_lo
	s_waitcnt lgkmcnt(3)
	global_store_dwordx4 v[20:21], v[0:3], off
	s_waitcnt lgkmcnt(2)
	global_store_dwordx4 v[22:23], v[4:7], off
	;; [unrolled: 2-line block ×4, first 2 shown]
	v_lshlrev_b64 v[0:1], 4, v[28:29]
	v_add_nc_u32_e32 v8, 0xa20, v64
	v_mov_b32_e32 v9, v65
	v_add_nc_u32_e32 v10, 0xb64, v64
	v_mov_b32_e32 v11, v65
	v_add_nc_u32_e32 v26, 0xca8, v64
	v_add_co_u32 v20, vcc_lo, v31, v0
	v_add_co_ci_u32_e32 v21, vcc_lo, v32, v1, vcc_lo
	ds_read_b128 v[0:3], v30 offset:36288
	ds_read_b128 v[4:7], v30 offset:41472
	v_lshlrev_b64 v[22:23], 4, v[8:9]
	v_lshlrev_b64 v[24:25], 4, v[10:11]
	ds_read_b128 v[8:11], v30 offset:46656
	ds_read_b128 v[16:19], v30 offset:51840
	v_mov_b32_e32 v27, v65
	v_add_nc_u32_e32 v64, 0xdec, v64
	v_add_co_u32 v22, vcc_lo, v31, v22
	v_lshlrev_b64 v[26:27], 4, v[26:27]
	v_add_co_ci_u32_e32 v23, vcc_lo, v32, v23, vcc_lo
	v_add_co_u32 v24, vcc_lo, v31, v24
	v_lshlrev_b64 v[28:29], 4, v[64:65]
	v_add_co_ci_u32_e32 v25, vcc_lo, v32, v25, vcc_lo
	v_add_co_u32 v26, vcc_lo, v31, v26
	v_add_co_ci_u32_e32 v27, vcc_lo, v32, v27, vcc_lo
	v_add_co_u32 v28, vcc_lo, v31, v28
	v_add_co_ci_u32_e32 v29, vcc_lo, v32, v29, vcc_lo
	s_waitcnt lgkmcnt(3)
	global_store_dwordx4 v[20:21], v[0:3], off
	s_waitcnt lgkmcnt(2)
	global_store_dwordx4 v[22:23], v[4:7], off
	;; [unrolled: 2-line block ×4, first 2 shown]
	global_store_dwordx4 v[28:29], v[12:15], off
.LBB0_21:
	s_endpgm
	.section	.rodata,"a",@progbits
	.p2align	6, 0x0
	.amdhsa_kernel fft_rtc_back_len3888_factors_16_3_3_3_3_3_wgs_324_tpt_324_halfLds_dp_ip_CI_unitstride_sbrr_C2R_dirReg
		.amdhsa_group_segment_fixed_size 0
		.amdhsa_private_segment_fixed_size 0
		.amdhsa_kernarg_size 88
		.amdhsa_user_sgpr_count 6
		.amdhsa_user_sgpr_private_segment_buffer 1
		.amdhsa_user_sgpr_dispatch_ptr 0
		.amdhsa_user_sgpr_queue_ptr 0
		.amdhsa_user_sgpr_kernarg_segment_ptr 1
		.amdhsa_user_sgpr_dispatch_id 0
		.amdhsa_user_sgpr_flat_scratch_init 0
		.amdhsa_user_sgpr_private_segment_size 0
		.amdhsa_wavefront_size32 1
		.amdhsa_uses_dynamic_stack 0
		.amdhsa_system_sgpr_private_segment_wavefront_offset 0
		.amdhsa_system_sgpr_workgroup_id_x 1
		.amdhsa_system_sgpr_workgroup_id_y 0
		.amdhsa_system_sgpr_workgroup_id_z 0
		.amdhsa_system_sgpr_workgroup_info 0
		.amdhsa_system_vgpr_workitem_id 0
		.amdhsa_next_free_vgpr 118
		.amdhsa_next_free_sgpr 21
		.amdhsa_reserve_vcc 1
		.amdhsa_reserve_flat_scratch 0
		.amdhsa_float_round_mode_32 0
		.amdhsa_float_round_mode_16_64 0
		.amdhsa_float_denorm_mode_32 3
		.amdhsa_float_denorm_mode_16_64 3
		.amdhsa_dx10_clamp 1
		.amdhsa_ieee_mode 1
		.amdhsa_fp16_overflow 0
		.amdhsa_workgroup_processor_mode 1
		.amdhsa_memory_ordered 1
		.amdhsa_forward_progress 0
		.amdhsa_shared_vgpr_count 0
		.amdhsa_exception_fp_ieee_invalid_op 0
		.amdhsa_exception_fp_denorm_src 0
		.amdhsa_exception_fp_ieee_div_zero 0
		.amdhsa_exception_fp_ieee_overflow 0
		.amdhsa_exception_fp_ieee_underflow 0
		.amdhsa_exception_fp_ieee_inexact 0
		.amdhsa_exception_int_div_zero 0
	.end_amdhsa_kernel
	.text
.Lfunc_end0:
	.size	fft_rtc_back_len3888_factors_16_3_3_3_3_3_wgs_324_tpt_324_halfLds_dp_ip_CI_unitstride_sbrr_C2R_dirReg, .Lfunc_end0-fft_rtc_back_len3888_factors_16_3_3_3_3_3_wgs_324_tpt_324_halfLds_dp_ip_CI_unitstride_sbrr_C2R_dirReg
                                        ; -- End function
	.section	.AMDGPU.csdata,"",@progbits
; Kernel info:
; codeLenInByte = 11792
; NumSgprs: 23
; NumVgprs: 118
; ScratchSize: 0
; MemoryBound: 0
; FloatMode: 240
; IeeeMode: 1
; LDSByteSize: 0 bytes/workgroup (compile time only)
; SGPRBlocks: 2
; VGPRBlocks: 14
; NumSGPRsForWavesPerEU: 23
; NumVGPRsForWavesPerEU: 118
; Occupancy: 8
; WaveLimiterHint : 1
; COMPUTE_PGM_RSRC2:SCRATCH_EN: 0
; COMPUTE_PGM_RSRC2:USER_SGPR: 6
; COMPUTE_PGM_RSRC2:TRAP_HANDLER: 0
; COMPUTE_PGM_RSRC2:TGID_X_EN: 1
; COMPUTE_PGM_RSRC2:TGID_Y_EN: 0
; COMPUTE_PGM_RSRC2:TGID_Z_EN: 0
; COMPUTE_PGM_RSRC2:TIDIG_COMP_CNT: 0
	.text
	.p2alignl 6, 3214868480
	.fill 48, 4, 3214868480
	.type	__hip_cuid_5d7253ae821592c6,@object ; @__hip_cuid_5d7253ae821592c6
	.section	.bss,"aw",@nobits
	.globl	__hip_cuid_5d7253ae821592c6
__hip_cuid_5d7253ae821592c6:
	.byte	0                               ; 0x0
	.size	__hip_cuid_5d7253ae821592c6, 1

	.ident	"AMD clang version 19.0.0git (https://github.com/RadeonOpenCompute/llvm-project roc-6.4.0 25133 c7fe45cf4b819c5991fe208aaa96edf142730f1d)"
	.section	".note.GNU-stack","",@progbits
	.addrsig
	.addrsig_sym __hip_cuid_5d7253ae821592c6
	.amdgpu_metadata
---
amdhsa.kernels:
  - .args:
      - .actual_access:  read_only
        .address_space:  global
        .offset:         0
        .size:           8
        .value_kind:     global_buffer
      - .offset:         8
        .size:           8
        .value_kind:     by_value
      - .actual_access:  read_only
        .address_space:  global
        .offset:         16
        .size:           8
        .value_kind:     global_buffer
      - .actual_access:  read_only
        .address_space:  global
        .offset:         24
        .size:           8
        .value_kind:     global_buffer
      - .offset:         32
        .size:           8
        .value_kind:     by_value
      - .actual_access:  read_only
        .address_space:  global
        .offset:         40
        .size:           8
        .value_kind:     global_buffer
      - .actual_access:  read_only
        .address_space:  global
        .offset:         48
        .size:           8
        .value_kind:     global_buffer
      - .offset:         56
        .size:           4
        .value_kind:     by_value
      - .actual_access:  read_only
        .address_space:  global
        .offset:         64
        .size:           8
        .value_kind:     global_buffer
      - .actual_access:  read_only
        .address_space:  global
        .offset:         72
        .size:           8
        .value_kind:     global_buffer
      - .address_space:  global
        .offset:         80
        .size:           8
        .value_kind:     global_buffer
    .group_segment_fixed_size: 0
    .kernarg_segment_align: 8
    .kernarg_segment_size: 88
    .language:       OpenCL C
    .language_version:
      - 2
      - 0
    .max_flat_workgroup_size: 324
    .name:           fft_rtc_back_len3888_factors_16_3_3_3_3_3_wgs_324_tpt_324_halfLds_dp_ip_CI_unitstride_sbrr_C2R_dirReg
    .private_segment_fixed_size: 0
    .sgpr_count:     23
    .sgpr_spill_count: 0
    .symbol:         fft_rtc_back_len3888_factors_16_3_3_3_3_3_wgs_324_tpt_324_halfLds_dp_ip_CI_unitstride_sbrr_C2R_dirReg.kd
    .uniform_work_group_size: 1
    .uses_dynamic_stack: false
    .vgpr_count:     118
    .vgpr_spill_count: 0
    .wavefront_size: 32
    .workgroup_processor_mode: 1
amdhsa.target:   amdgcn-amd-amdhsa--gfx1030
amdhsa.version:
  - 1
  - 2
...

	.end_amdgpu_metadata
